;; amdgpu-corpus repo=ROCm/rocFFT kind=compiled arch=gfx906 opt=O3
	.text
	.amdgcn_target "amdgcn-amd-amdhsa--gfx906"
	.amdhsa_code_object_version 6
	.protected	fft_rtc_fwd_len1024_factors_8_8_4_4_wgs_128_tpt_128_halfLds_dp_op_CI_CI_unitstride_sbrr_C2R_dirReg ; -- Begin function fft_rtc_fwd_len1024_factors_8_8_4_4_wgs_128_tpt_128_halfLds_dp_op_CI_CI_unitstride_sbrr_C2R_dirReg
	.globl	fft_rtc_fwd_len1024_factors_8_8_4_4_wgs_128_tpt_128_halfLds_dp_op_CI_CI_unitstride_sbrr_C2R_dirReg
	.p2align	8
	.type	fft_rtc_fwd_len1024_factors_8_8_4_4_wgs_128_tpt_128_halfLds_dp_op_CI_CI_unitstride_sbrr_C2R_dirReg,@function
fft_rtc_fwd_len1024_factors_8_8_4_4_wgs_128_tpt_128_halfLds_dp_op_CI_CI_unitstride_sbrr_C2R_dirReg: ; @fft_rtc_fwd_len1024_factors_8_8_4_4_wgs_128_tpt_128_halfLds_dp_op_CI_CI_unitstride_sbrr_C2R_dirReg
; %bb.0:
	s_load_dwordx4 s[12:15], s[4:5], 0x0
	s_load_dwordx4 s[8:11], s[4:5], 0x58
	;; [unrolled: 1-line block ×3, first 2 shown]
	v_mov_b32_e32 v3, 0
	v_mov_b32_e32 v1, 0
	s_waitcnt lgkmcnt(0)
	v_cmp_lt_u64_e64 s[0:1], s[14:15], 2
	v_mov_b32_e32 v9, s6
	v_mov_b32_e32 v10, v3
	s_and_b64 vcc, exec, s[0:1]
	v_mov_b32_e32 v2, 0
	s_cbranch_vccnz .LBB0_8
; %bb.1:
	s_load_dwordx2 s[0:1], s[4:5], 0x10
	s_add_u32 s2, s18, 8
	s_addc_u32 s3, s19, 0
	s_add_u32 s6, s16, 8
	v_mov_b32_e32 v1, 0
	s_addc_u32 s7, s17, 0
	v_mov_b32_e32 v2, 0
	s_waitcnt lgkmcnt(0)
	s_add_u32 s20, s0, 8
	v_mov_b32_e32 v6, v2
	s_addc_u32 s21, s1, 0
	s_mov_b64 s[22:23], 1
	v_mov_b32_e32 v5, v1
.LBB0_2:                                ; =>This Inner Loop Header: Depth=1
	s_load_dwordx2 s[24:25], s[20:21], 0x0
                                        ; implicit-def: $vgpr7_vgpr8
	s_waitcnt lgkmcnt(0)
	v_or_b32_e32 v4, s25, v10
	v_cmp_ne_u64_e32 vcc, 0, v[3:4]
	s_and_saveexec_b64 s[0:1], vcc
	s_xor_b64 s[26:27], exec, s[0:1]
	s_cbranch_execz .LBB0_4
; %bb.3:                                ;   in Loop: Header=BB0_2 Depth=1
	v_cvt_f32_u32_e32 v4, s24
	v_cvt_f32_u32_e32 v7, s25
	s_sub_u32 s0, 0, s24
	s_subb_u32 s1, 0, s25
	v_mac_f32_e32 v4, 0x4f800000, v7
	v_rcp_f32_e32 v4, v4
	v_mul_f32_e32 v4, 0x5f7ffffc, v4
	v_mul_f32_e32 v7, 0x2f800000, v4
	v_trunc_f32_e32 v7, v7
	v_mac_f32_e32 v4, 0xcf800000, v7
	v_cvt_u32_f32_e32 v7, v7
	v_cvt_u32_f32_e32 v4, v4
	v_mul_lo_u32 v8, s0, v7
	v_mul_hi_u32 v11, s0, v4
	v_mul_lo_u32 v13, s1, v4
	v_mul_lo_u32 v12, s0, v4
	v_add_u32_e32 v8, v11, v8
	v_add_u32_e32 v8, v8, v13
	v_mul_hi_u32 v11, v4, v12
	v_mul_lo_u32 v13, v4, v8
	v_mul_hi_u32 v15, v4, v8
	v_mul_hi_u32 v14, v7, v12
	v_mul_lo_u32 v12, v7, v12
	v_mul_hi_u32 v16, v7, v8
	v_add_co_u32_e32 v11, vcc, v11, v13
	v_addc_co_u32_e32 v13, vcc, 0, v15, vcc
	v_mul_lo_u32 v8, v7, v8
	v_add_co_u32_e32 v11, vcc, v11, v12
	v_addc_co_u32_e32 v11, vcc, v13, v14, vcc
	v_addc_co_u32_e32 v12, vcc, 0, v16, vcc
	v_add_co_u32_e32 v8, vcc, v11, v8
	v_addc_co_u32_e32 v11, vcc, 0, v12, vcc
	v_add_co_u32_e32 v4, vcc, v4, v8
	v_addc_co_u32_e32 v7, vcc, v7, v11, vcc
	v_mul_lo_u32 v8, s0, v7
	v_mul_hi_u32 v11, s0, v4
	v_mul_lo_u32 v12, s1, v4
	v_mul_lo_u32 v13, s0, v4
	v_add_u32_e32 v8, v11, v8
	v_add_u32_e32 v8, v8, v12
	v_mul_lo_u32 v14, v4, v8
	v_mul_hi_u32 v15, v4, v13
	v_mul_hi_u32 v16, v4, v8
	;; [unrolled: 1-line block ×3, first 2 shown]
	v_mul_lo_u32 v13, v7, v13
	v_mul_hi_u32 v11, v7, v8
	v_add_co_u32_e32 v14, vcc, v15, v14
	v_addc_co_u32_e32 v15, vcc, 0, v16, vcc
	v_mul_lo_u32 v8, v7, v8
	v_add_co_u32_e32 v13, vcc, v14, v13
	v_addc_co_u32_e32 v12, vcc, v15, v12, vcc
	v_addc_co_u32_e32 v11, vcc, 0, v11, vcc
	v_add_co_u32_e32 v8, vcc, v12, v8
	v_addc_co_u32_e32 v11, vcc, 0, v11, vcc
	v_add_co_u32_e32 v4, vcc, v4, v8
	v_addc_co_u32_e32 v11, vcc, v7, v11, vcc
	v_mad_u64_u32 v[7:8], s[0:1], v9, v11, 0
	v_mul_hi_u32 v12, v9, v4
	v_add_co_u32_e32 v13, vcc, v12, v7
	v_addc_co_u32_e32 v14, vcc, 0, v8, vcc
	v_mad_u64_u32 v[7:8], s[0:1], v10, v4, 0
	v_mad_u64_u32 v[11:12], s[0:1], v10, v11, 0
	v_add_co_u32_e32 v4, vcc, v13, v7
	v_addc_co_u32_e32 v4, vcc, v14, v8, vcc
	v_addc_co_u32_e32 v7, vcc, 0, v12, vcc
	v_add_co_u32_e32 v4, vcc, v4, v11
	v_addc_co_u32_e32 v11, vcc, 0, v7, vcc
	v_mul_lo_u32 v12, s25, v4
	v_mul_lo_u32 v13, s24, v11
	v_mad_u64_u32 v[7:8], s[0:1], s24, v4, 0
	v_add3_u32 v8, v8, v13, v12
	v_sub_u32_e32 v12, v10, v8
	v_mov_b32_e32 v13, s25
	v_sub_co_u32_e32 v7, vcc, v9, v7
	v_subb_co_u32_e64 v12, s[0:1], v12, v13, vcc
	v_subrev_co_u32_e64 v13, s[0:1], s24, v7
	v_subbrev_co_u32_e64 v12, s[0:1], 0, v12, s[0:1]
	v_cmp_le_u32_e64 s[0:1], s25, v12
	v_cndmask_b32_e64 v14, 0, -1, s[0:1]
	v_cmp_le_u32_e64 s[0:1], s24, v13
	v_cndmask_b32_e64 v13, 0, -1, s[0:1]
	v_cmp_eq_u32_e64 s[0:1], s25, v12
	v_cndmask_b32_e64 v12, v14, v13, s[0:1]
	v_add_co_u32_e64 v13, s[0:1], 2, v4
	v_addc_co_u32_e64 v14, s[0:1], 0, v11, s[0:1]
	v_add_co_u32_e64 v15, s[0:1], 1, v4
	v_addc_co_u32_e64 v16, s[0:1], 0, v11, s[0:1]
	v_subb_co_u32_e32 v8, vcc, v10, v8, vcc
	v_cmp_ne_u32_e64 s[0:1], 0, v12
	v_cmp_le_u32_e32 vcc, s25, v8
	v_cndmask_b32_e64 v12, v16, v14, s[0:1]
	v_cndmask_b32_e64 v14, 0, -1, vcc
	v_cmp_le_u32_e32 vcc, s24, v7
	v_cndmask_b32_e64 v7, 0, -1, vcc
	v_cmp_eq_u32_e32 vcc, s25, v8
	v_cndmask_b32_e32 v7, v14, v7, vcc
	v_cmp_ne_u32_e32 vcc, 0, v7
	v_cndmask_b32_e64 v7, v15, v13, s[0:1]
	v_cndmask_b32_e32 v8, v11, v12, vcc
	v_cndmask_b32_e32 v7, v4, v7, vcc
.LBB0_4:                                ;   in Loop: Header=BB0_2 Depth=1
	s_andn2_saveexec_b64 s[0:1], s[26:27]
	s_cbranch_execz .LBB0_6
; %bb.5:                                ;   in Loop: Header=BB0_2 Depth=1
	v_cvt_f32_u32_e32 v4, s24
	s_sub_i32 s26, 0, s24
	v_rcp_iflag_f32_e32 v4, v4
	v_mul_f32_e32 v4, 0x4f7ffffe, v4
	v_cvt_u32_f32_e32 v4, v4
	v_mul_lo_u32 v7, s26, v4
	v_mul_hi_u32 v7, v4, v7
	v_add_u32_e32 v4, v4, v7
	v_mul_hi_u32 v4, v9, v4
	v_mul_lo_u32 v7, v4, s24
	v_add_u32_e32 v8, 1, v4
	v_sub_u32_e32 v7, v9, v7
	v_subrev_u32_e32 v11, s24, v7
	v_cmp_le_u32_e32 vcc, s24, v7
	v_cndmask_b32_e32 v7, v7, v11, vcc
	v_cndmask_b32_e32 v4, v4, v8, vcc
	v_add_u32_e32 v8, 1, v4
	v_cmp_le_u32_e32 vcc, s24, v7
	v_cndmask_b32_e32 v7, v4, v8, vcc
	v_mov_b32_e32 v8, v3
.LBB0_6:                                ;   in Loop: Header=BB0_2 Depth=1
	s_or_b64 exec, exec, s[0:1]
	v_mul_lo_u32 v4, v8, s24
	v_mul_lo_u32 v13, v7, s25
	v_mad_u64_u32 v[11:12], s[0:1], v7, s24, 0
	s_load_dwordx2 s[0:1], s[6:7], 0x0
	s_load_dwordx2 s[24:25], s[2:3], 0x0
	v_add3_u32 v4, v12, v13, v4
	v_sub_co_u32_e32 v9, vcc, v9, v11
	v_subb_co_u32_e32 v4, vcc, v10, v4, vcc
	s_waitcnt lgkmcnt(0)
	v_mul_lo_u32 v10, s0, v4
	v_mul_lo_u32 v11, s1, v9
	v_mad_u64_u32 v[1:2], s[0:1], s0, v9, v[1:2]
	s_add_u32 s22, s22, 1
	s_addc_u32 s23, s23, 0
	s_add_u32 s2, s2, 8
	v_mul_lo_u32 v4, s24, v4
	v_mul_lo_u32 v12, s25, v9
	v_mad_u64_u32 v[5:6], s[0:1], s24, v9, v[5:6]
	v_add3_u32 v2, v11, v2, v10
	s_addc_u32 s3, s3, 0
	v_mov_b32_e32 v9, s14
	s_add_u32 s6, s6, 8
	v_mov_b32_e32 v10, s15
	s_addc_u32 s7, s7, 0
	v_cmp_ge_u64_e32 vcc, s[22:23], v[9:10]
	s_add_u32 s20, s20, 8
	v_add3_u32 v6, v12, v6, v4
	s_addc_u32 s21, s21, 0
	s_cbranch_vccnz .LBB0_9
; %bb.7:                                ;   in Loop: Header=BB0_2 Depth=1
	v_mov_b32_e32 v10, v8
	v_mov_b32_e32 v9, v7
	s_branch .LBB0_2
.LBB0_8:
	v_mov_b32_e32 v6, v2
	v_mov_b32_e32 v7, v9
	;; [unrolled: 1-line block ×4, first 2 shown]
.LBB0_9:
	s_load_dwordx2 s[0:1], s[4:5], 0x28
	s_lshl_b64 s[6:7], s[14:15], 3
	s_add_u32 s2, s18, s6
	s_addc_u32 s3, s19, s7
                                        ; implicit-def: $vgpr9
	s_waitcnt lgkmcnt(0)
	v_cmp_gt_u64_e32 vcc, s[0:1], v[7:8]
	v_cmp_le_u64_e64 s[0:1], s[0:1], v[7:8]
	s_and_saveexec_b64 s[4:5], s[0:1]
	s_xor_b64 s[0:1], exec, s[4:5]
; %bb.10:
	v_mov_b32_e32 v9, v0
                                        ; implicit-def: $vgpr1_vgpr2
; %bb.11:
	s_or_saveexec_b64 s[4:5], s[0:1]
	s_load_dwordx2 s[2:3], s[2:3], 0x0
	s_xor_b64 exec, exec, s[4:5]
	s_cbranch_execz .LBB0_15
; %bb.12:
	s_add_u32 s0, s16, s6
	s_addc_u32 s1, s17, s7
	s_load_dwordx2 s[0:1], s[0:1], 0x0
	v_mov_b32_e32 v11, s9
	v_lshlrev_b64 v[1:2], 4, v[1:2]
	v_lshlrev_b32_e32 v47, 4, v0
	v_or_b32_e32 v48, 0x3800, v47
	s_waitcnt lgkmcnt(0)
	v_mul_lo_u32 v9, s1, v7
	v_mul_lo_u32 v10, s0, v8
	v_mad_u64_u32 v[3:4], s[0:1], s0, v7, 0
	v_or_b32_e32 v23, 0x2000, v47
	v_or_b32_e32 v24, 0x2800, v47
	v_add3_u32 v4, v4, v10, v9
	v_lshlrev_b64 v[3:4], 4, v[3:4]
	v_or_b32_e32 v25, 0x3000, v47
	v_add_co_u32_e64 v3, s[0:1], s8, v3
	v_addc_co_u32_e64 v4, s[0:1], v11, v4, s[0:1]
	v_add_co_u32_e64 v21, s[0:1], v3, v1
	v_addc_co_u32_e64 v22, s[0:1], v4, v2, s[0:1]
	;; [unrolled: 2-line block ×3, first 2 shown]
	v_or_b32_e32 v3, 0x1000, v47
	v_add_co_u32_e64 v3, s[0:1], v21, v3
	v_addc_co_u32_e64 v4, s[0:1], 0, v22, s[0:1]
	global_load_dwordx4 v[9:12], v[1:2], off
	global_load_dwordx4 v[13:16], v[1:2], off offset:2048
	global_load_dwordx4 v[17:20], v[3:4], off
	v_add_co_u32_e64 v1, s[0:1], v21, v48
	v_or_b32_e32 v3, 0x1800, v47
	v_addc_co_u32_e64 v2, s[0:1], 0, v22, s[0:1]
	v_add_co_u32_e64 v3, s[0:1], v21, v3
	v_addc_co_u32_e64 v4, s[0:1], 0, v22, s[0:1]
	v_add_co_u32_e64 v41, s[0:1], v21, v23
	;; [unrolled: 2-line block ×4, first 2 shown]
	v_addc_co_u32_e64 v46, s[0:1], 0, v22, s[0:1]
	global_load_dwordx4 v[21:24], v[3:4], off
	global_load_dwordx4 v[25:28], v[41:42], off
	;; [unrolled: 1-line block ×5, first 2 shown]
	s_movk_i32 s0, 0x7f
	v_add_u32_e32 v4, 0, v47
	v_cmp_eq_u32_e64 s[0:1], s0, v0
	v_add_u32_e32 v3, 0, v48
	s_waitcnt vmcnt(7)
	ds_write_b128 v4, v[9:12]
	s_waitcnt vmcnt(6)
	ds_write_b128 v4, v[13:16] offset:2048
	s_waitcnt vmcnt(5)
	ds_write_b128 v4, v[17:20] offset:4096
	;; [unrolled: 2-line block ×6, first 2 shown]
	s_waitcnt vmcnt(0)
	ds_write_b128 v3, v[37:40]
	v_mov_b32_e32 v9, v0
	s_and_saveexec_b64 s[6:7], s[0:1]
	s_cbranch_execz .LBB0_14
; %bb.13:
	global_load_dwordx4 v[9:12], v[1:2], off offset:16
	s_waitcnt vmcnt(0)
	ds_write_b128 v3, v[9:12] offset:16
	v_mov_b32_e32 v9, 0x7f
.LBB0_14:
	s_or_b64 exec, exec, s[6:7]
.LBB0_15:
	s_or_b64 exec, exec, s[4:5]
	v_lshlrev_b32_e32 v1, 4, v9
	v_add_u32_e32 v12, 0, v1
	s_waitcnt lgkmcnt(0)
	s_barrier
	v_sub_u32_e32 v13, 0, v1
	ds_read_b64 v[3:4], v12
	ds_read_b64 v[10:11], v13 offset:16384
	s_add_u32 s6, s12, 0x3f80
	s_addc_u32 s7, s13, 0
	v_cmp_ne_u32_e64 s[0:1], 0, v9
	s_waitcnt lgkmcnt(0)
	v_add_f64 v[1:2], v[3:4], v[10:11]
	v_add_f64 v[3:4], v[3:4], -v[10:11]
                                        ; implicit-def: $vgpr10_vgpr11
	s_and_saveexec_b64 s[4:5], s[0:1]
	s_xor_b64 s[4:5], exec, s[4:5]
	s_cbranch_execz .LBB0_17
; %bb.16:
	v_mov_b32_e32 v10, 0
	v_lshlrev_b64 v[14:15], 4, v[9:10]
	v_mov_b32_e32 v11, s7
	v_add_co_u32_e64 v14, s[0:1], s6, v14
	v_addc_co_u32_e64 v15, s[0:1], v11, v15, s[0:1]
	global_load_dwordx4 v[14:17], v[14:15], off
	ds_read_b64 v[18:19], v13 offset:16392
	ds_read_b64 v[20:21], v12 offset:8
	v_mov_b32_e32 v11, v10
	v_mov_b32_e32 v10, v9
	s_waitcnt lgkmcnt(0)
	v_add_f64 v[22:23], v[18:19], v[20:21]
	v_add_f64 v[18:19], v[20:21], -v[18:19]
	s_waitcnt vmcnt(0)
	v_fma_f64 v[20:21], v[3:4], v[16:17], v[1:2]
	v_fma_f64 v[24:25], v[22:23], v[16:17], v[18:19]
	v_fma_f64 v[1:2], -v[3:4], v[16:17], v[1:2]
	v_fma_f64 v[26:27], v[22:23], v[16:17], -v[18:19]
	v_fma_f64 v[16:17], -v[22:23], v[14:15], v[20:21]
	v_fma_f64 v[18:19], v[3:4], v[14:15], v[24:25]
	v_fma_f64 v[1:2], v[22:23], v[14:15], v[1:2]
	;; [unrolled: 1-line block ×3, first 2 shown]
	ds_write_b128 v12, v[16:19]
	ds_write_b128 v13, v[1:4] offset:16384
                                        ; implicit-def: $vgpr1_vgpr2
.LBB0_17:
	s_andn2_saveexec_b64 s[0:1], s[4:5]
	s_cbranch_execz .LBB0_19
; %bb.18:
	ds_write_b128 v12, v[1:4]
	v_mov_b32_e32 v14, 0
	ds_read_b128 v[1:4], v14 offset:8192
	v_mov_b32_e32 v10, 0
	v_mov_b32_e32 v11, 0
	s_waitcnt lgkmcnt(0)
	v_add_f64 v[1:2], v[1:2], v[1:2]
	v_mul_f64 v[3:4], v[3:4], -2.0
	ds_write_b128 v14, v[1:4] offset:8192
.LBB0_19:
	s_or_b64 exec, exec, s[0:1]
	v_lshlrev_b64 v[1:2], 4, v[10:11]
	v_mov_b32_e32 v3, s7
	v_add_co_u32_e64 v1, s[0:1], s6, v1
	v_addc_co_u32_e64 v2, s[0:1], v3, v2, s[0:1]
	global_load_dwordx4 v[14:17], v[1:2], off offset:2048
	v_or_b32_e32 v1, 0x100, v9
	v_mov_b32_e32 v2, 0
	v_lshlrev_b64 v[3:4], 4, v[1:2]
	v_mov_b32_e32 v10, s7
	v_add_co_u32_e64 v3, s[0:1], s6, v3
	v_addc_co_u32_e64 v4, s[0:1], v10, v4, s[0:1]
	global_load_dwordx4 v[18:21], v[3:4], off
	v_or_b32_e32 v1, 0x180, v9
	v_lshlrev_b64 v[3:4], 4, v[1:2]
	ds_read_b128 v[22:25], v12 offset:2048
	ds_read_b128 v[26:29], v13 offset:14336
	v_add_co_u32_e64 v3, s[0:1], s6, v3
	v_addc_co_u32_e64 v4, s[0:1], v10, v4, s[0:1]
	global_load_dwordx4 v[30:33], v[3:4], off
	s_waitcnt lgkmcnt(0)
	v_add_f64 v[10:11], v[22:23], v[26:27]
	v_add_f64 v[34:35], v[28:29], v[24:25]
	v_add_f64 v[36:37], v[22:23], -v[26:27]
	v_add_f64 v[3:4], v[24:25], -v[28:29]
	v_and_b32_e32 v1, 7, v0
	s_mov_b32 s0, 0x667f3bcd
	s_mov_b32 s1, 0xbfe6a09e
	;; [unrolled: 1-line block ×4, first 2 shown]
	s_movk_i32 s6, 0x70
	v_mad_u32_u24 v57, v9, s6, v12
	s_movk_i32 s6, 0x3c0
	s_waitcnt vmcnt(2)
	v_fma_f64 v[22:23], v[36:37], v[16:17], v[10:11]
	v_fma_f64 v[24:25], v[34:35], v[16:17], v[3:4]
	v_fma_f64 v[10:11], -v[36:37], v[16:17], v[10:11]
	v_fma_f64 v[3:4], v[34:35], v[16:17], -v[3:4]
	v_fma_f64 v[22:23], -v[34:35], v[14:15], v[22:23]
	v_fma_f64 v[24:25], v[36:37], v[14:15], v[24:25]
	v_fma_f64 v[26:27], v[34:35], v[14:15], v[10:11]
	;; [unrolled: 1-line block ×3, first 2 shown]
	ds_write_b128 v12, v[22:25] offset:2048
	ds_write_b128 v13, v[26:29] offset:14336
	ds_read_b128 v[14:17], v12 offset:4096
	ds_read_b128 v[22:25], v13 offset:12288
	s_waitcnt lgkmcnt(0)
	v_add_f64 v[3:4], v[14:15], v[22:23]
	v_add_f64 v[10:11], v[24:25], v[16:17]
	v_add_f64 v[22:23], v[14:15], -v[22:23]
	v_add_f64 v[14:15], v[16:17], -v[24:25]
	s_waitcnt vmcnt(1)
	v_fma_f64 v[16:17], v[22:23], v[20:21], v[3:4]
	v_fma_f64 v[24:25], v[10:11], v[20:21], v[14:15]
	v_fma_f64 v[3:4], -v[22:23], v[20:21], v[3:4]
	v_fma_f64 v[26:27], v[10:11], v[20:21], -v[14:15]
	v_fma_f64 v[14:15], -v[10:11], v[18:19], v[16:17]
	v_fma_f64 v[16:17], v[22:23], v[18:19], v[24:25]
	v_fma_f64 v[20:21], v[10:11], v[18:19], v[3:4]
	;; [unrolled: 1-line block ×3, first 2 shown]
	ds_write_b128 v12, v[14:17] offset:4096
	ds_write_b128 v13, v[20:23] offset:12288
	ds_read_b128 v[14:17], v12 offset:6144
	ds_read_b128 v[18:21], v13 offset:10240
	s_waitcnt lgkmcnt(0)
	v_add_f64 v[3:4], v[14:15], v[18:19]
	v_add_f64 v[10:11], v[20:21], v[16:17]
	v_add_f64 v[22:23], v[14:15], -v[18:19]
	v_add_f64 v[14:15], v[16:17], -v[20:21]
	s_waitcnt vmcnt(0)
	v_fma_f64 v[16:17], v[22:23], v[32:33], v[3:4]
	v_fma_f64 v[18:19], v[10:11], v[32:33], v[14:15]
	v_fma_f64 v[3:4], -v[22:23], v[32:33], v[3:4]
	v_fma_f64 v[20:21], v[10:11], v[32:33], -v[14:15]
	v_fma_f64 v[14:15], -v[10:11], v[30:31], v[16:17]
	v_fma_f64 v[16:17], v[22:23], v[30:31], v[18:19]
	v_fma_f64 v[18:19], v[10:11], v[30:31], v[3:4]
	;; [unrolled: 1-line block ×3, first 2 shown]
	ds_write_b128 v12, v[14:17] offset:6144
	ds_write_b128 v13, v[18:21] offset:10240
	s_waitcnt lgkmcnt(0)
	s_barrier
	s_barrier
	ds_read_b128 v[13:16], v12
	ds_read_b128 v[17:20], v12 offset:2048
	ds_read_b128 v[21:24], v12 offset:8192
	ds_read_b128 v[25:28], v12 offset:10240
	ds_read_b128 v[29:32], v12 offset:4096
	ds_read_b128 v[33:36], v12 offset:6144
	ds_read_b128 v[37:40], v12 offset:12288
	ds_read_b128 v[41:44], v12 offset:14336
	v_mul_u32_u24_e32 v3, 7, v1
	v_lshlrev_b32_e32 v58, 4, v3
	s_waitcnt lgkmcnt(5)
	v_add_f64 v[3:4], v[13:14], -v[21:22]
	v_add_f64 v[10:11], v[15:16], -v[23:24]
	s_waitcnt lgkmcnt(1)
	v_add_f64 v[21:22], v[29:30], -v[37:38]
	v_add_f64 v[23:24], v[31:32], -v[39:40]
	;; [unrolled: 1-line block ×4, first 2 shown]
	s_waitcnt lgkmcnt(0)
	v_add_f64 v[37:38], v[35:36], -v[43:44]
	v_add_f64 v[39:40], v[33:34], -v[41:42]
	v_fma_f64 v[13:14], v[13:14], 2.0, -v[3:4]
	v_fma_f64 v[15:16], v[15:16], 2.0, -v[10:11]
	;; [unrolled: 1-line block ×8, first 2 shown]
	v_add_f64 v[41:42], v[25:26], -v[37:38]
	v_add_f64 v[43:44], v[27:28], v[39:40]
	v_add_f64 v[37:38], v[3:4], -v[23:24]
	v_add_f64 v[39:40], v[10:11], v[21:22]
	v_add_f64 v[29:30], v[13:14], -v[29:30]
	v_add_f64 v[31:32], v[15:16], -v[31:32]
	;; [unrolled: 1-line block ×4, first 2 shown]
	v_fma_f64 v[45:46], v[25:26], 2.0, -v[41:42]
	v_fma_f64 v[25:26], v[27:28], 2.0, -v[43:44]
	;; [unrolled: 1-line block ×4, first 2 shown]
	v_fma_f64 v[27:28], v[43:44], s[4:5], v[39:40]
	v_fma_f64 v[33:34], v[41:42], s[4:5], v[37:38]
	v_fma_f64 v[47:48], v[13:14], 2.0, -v[29:30]
	v_fma_f64 v[49:50], v[15:16], 2.0, -v[31:32]
	;; [unrolled: 1-line block ×4, first 2 shown]
	v_fma_f64 v[53:54], v[45:46], s[0:1], v[3:4]
	v_fma_f64 v[55:56], v[25:26], s[0:1], v[10:11]
	v_add_f64 v[13:14], v[29:30], -v[23:24]
	v_add_f64 v[15:16], v[31:32], v[21:22]
	v_fma_f64 v[17:18], v[43:44], s[0:1], v[33:34]
	v_fma_f64 v[19:20], v[41:42], s[4:5], v[27:28]
	v_add_f64 v[21:22], v[47:48], -v[35:36]
	v_add_f64 v[23:24], v[49:50], -v[51:52]
	v_fma_f64 v[25:26], v[25:26], s[0:1], v[53:54]
	v_fma_f64 v[27:28], v[45:46], s[4:5], v[55:56]
	v_fma_f64 v[29:30], v[29:30], 2.0, -v[13:14]
	v_fma_f64 v[31:32], v[31:32], 2.0, -v[15:16]
	;; [unrolled: 1-line block ×8, first 2 shown]
	s_barrier
	ds_write_b128 v57, v[13:16] offset:96
	ds_write_b128 v57, v[17:20] offset:112
	;; [unrolled: 1-line block ×6, first 2 shown]
	ds_write_b128 v57, v[37:40]
	ds_write_b128 v57, v[41:44] offset:16
	s_waitcnt lgkmcnt(0)
	s_barrier
	global_load_dwordx4 v[13:16], v58, s[12:13]
	global_load_dwordx4 v[17:20], v58, s[12:13] offset:16
	global_load_dwordx4 v[21:24], v58, s[12:13] offset:32
	;; [unrolled: 1-line block ×6, first 2 shown]
	ds_read_b128 v[41:44], v12 offset:2048
	ds_read_b128 v[45:48], v12
	ds_read_b128 v[49:52], v12 offset:4096
	ds_read_b128 v[53:56], v12 offset:6144
	s_waitcnt vmcnt(6) lgkmcnt(3)
	v_mul_f64 v[3:4], v[43:44], v[15:16]
	v_mul_f64 v[10:11], v[41:42], v[15:16]
	s_waitcnt vmcnt(5) lgkmcnt(1)
	v_mul_f64 v[57:58], v[51:52], v[19:20]
	v_mul_f64 v[19:20], v[49:50], v[19:20]
	v_fma_f64 v[3:4], v[41:42], v[13:14], -v[3:4]
	v_fma_f64 v[10:11], v[43:44], v[13:14], v[10:11]
	s_waitcnt vmcnt(4) lgkmcnt(0)
	v_mul_f64 v[41:42], v[55:56], v[23:24]
	ds_read_b128 v[13:16], v12 offset:8192
	v_mul_f64 v[23:24], v[53:54], v[23:24]
	v_fma_f64 v[49:50], v[49:50], v[17:18], -v[57:58]
	v_fma_f64 v[51:52], v[51:52], v[17:18], v[19:20]
	ds_read_b128 v[17:20], v12 offset:10240
	s_waitcnt vmcnt(3) lgkmcnt(1)
	v_mul_f64 v[57:58], v[15:16], v[27:28]
	v_mul_f64 v[27:28], v[13:14], v[27:28]
	v_fma_f64 v[53:54], v[53:54], v[21:22], -v[41:42]
	ds_read_b128 v[41:44], v12 offset:14336
	v_fma_f64 v[55:56], v[55:56], v[21:22], v[23:24]
	ds_read_b128 v[21:24], v12 offset:12288
	s_waitcnt vmcnt(0) lgkmcnt(0)
	s_barrier
	v_fma_f64 v[13:14], v[13:14], v[25:26], -v[57:58]
	v_fma_f64 v[15:16], v[15:16], v[25:26], v[27:28]
	v_mul_f64 v[25:26], v[23:24], v[31:32]
	v_mul_f64 v[27:28], v[21:22], v[31:32]
	v_lshlrev_b32_e32 v31, 3, v9
	v_and_or_b32 v1, v31, s6, v1
	v_mul_f64 v[31:32], v[19:20], v[35:36]
	v_and_b32_e32 v57, 63, v0
	v_add_f64 v[13:14], v[45:46], -v[13:14]
	v_add_f64 v[15:16], v[47:48], -v[15:16]
	v_fma_f64 v[21:22], v[21:22], v[29:30], -v[25:26]
	v_fma_f64 v[23:24], v[23:24], v[29:30], v[27:28]
	v_mul_f64 v[25:26], v[17:18], v[35:36]
	v_mul_f64 v[27:28], v[41:42], v[39:40]
	;; [unrolled: 1-line block ×3, first 2 shown]
	v_fma_f64 v[17:18], v[17:18], v[33:34], -v[31:32]
	v_mul_u32_u24_e32 v58, 3, v57
	v_fma_f64 v[31:32], v[47:48], 2.0, -v[15:16]
	v_add_f64 v[21:22], v[49:50], -v[21:22]
	v_add_f64 v[23:24], v[51:52], -v[23:24]
	v_fma_f64 v[19:20], v[19:20], v[33:34], v[25:26]
	v_fma_f64 v[25:26], v[43:44], v[37:38], v[27:28]
	v_fma_f64 v[27:28], v[41:42], v[37:38], -v[29:30]
	v_add_f64 v[17:18], v[3:4], -v[17:18]
	v_fma_f64 v[29:30], v[45:46], 2.0, -v[13:14]
	v_lshl_add_u32 v1, v1, 4, 0
	v_add_f64 v[35:36], v[15:16], v[21:22]
	v_add_f64 v[33:34], v[13:14], -v[23:24]
	v_add_f64 v[19:20], v[10:11], -v[19:20]
	;; [unrolled: 1-line block ×4, first 2 shown]
	v_fma_f64 v[21:22], v[49:50], 2.0, -v[21:22]
	v_fma_f64 v[23:24], v[51:52], 2.0, -v[23:24]
	;; [unrolled: 1-line block ×8, first 2 shown]
	v_add_f64 v[25:26], v[17:18], -v[25:26]
	v_add_f64 v[27:28], v[19:20], v[27:28]
	v_add_f64 v[45:46], v[29:30], -v[21:22]
	v_add_f64 v[47:48], v[31:32], -v[23:24]
	v_lshlrev_b32_e32 v58, 4, v58
	v_add_f64 v[13:14], v[10:11], -v[39:40]
	v_add_f64 v[15:16], v[3:4], -v[37:38]
	v_fma_f64 v[37:38], v[17:18], 2.0, -v[25:26]
	v_fma_f64 v[39:40], v[19:20], 2.0, -v[27:28]
	v_fma_f64 v[17:18], v[25:26], s[4:5], v[33:34]
	v_fma_f64 v[19:20], v[27:28], s[4:5], v[35:36]
	v_fma_f64 v[49:50], v[29:30], 2.0, -v[45:46]
	v_fma_f64 v[51:52], v[31:32], 2.0, -v[47:48]
	;; [unrolled: 1-line block ×4, first 2 shown]
	v_fma_f64 v[29:30], v[37:38], s[0:1], v[41:42]
	v_fma_f64 v[31:32], v[39:40], s[0:1], v[43:44]
	v_add_f64 v[13:14], v[45:46], -v[13:14]
	v_add_f64 v[15:16], v[47:48], v[15:16]
	v_fma_f64 v[17:18], v[27:28], s[0:1], v[17:18]
	v_fma_f64 v[19:20], v[25:26], s[4:5], v[19:20]
	v_add_f64 v[23:24], v[51:52], -v[10:11]
	v_add_f64 v[21:22], v[49:50], -v[3:4]
	v_fma_f64 v[25:26], v[39:40], s[0:1], v[29:30]
	v_fma_f64 v[27:28], v[37:38], s[4:5], v[31:32]
	v_fma_f64 v[29:30], v[45:46], 2.0, -v[13:14]
	v_fma_f64 v[31:32], v[47:48], 2.0, -v[15:16]
	v_fma_f64 v[33:34], v[33:34], 2.0, -v[17:18]
	v_fma_f64 v[35:36], v[35:36], 2.0, -v[19:20]
	v_fma_f64 v[39:40], v[51:52], 2.0, -v[23:24]
	v_fma_f64 v[37:38], v[49:50], 2.0, -v[21:22]
	v_fma_f64 v[41:42], v[41:42], 2.0, -v[25:26]
	v_fma_f64 v[43:44], v[43:44], 2.0, -v[27:28]
	ds_write_b128 v1, v[13:16] offset:768
	ds_write_b128 v1, v[17:20] offset:896
	ds_write_b128 v1, v[29:32] offset:256
	ds_write_b128 v1, v[33:36] offset:384
	ds_write_b128 v1, v[21:24] offset:512
	ds_write_b128 v1, v[25:28] offset:640
	ds_write_b128 v1, v[37:40]
	ds_write_b128 v1, v[41:44] offset:128
	s_waitcnt lgkmcnt(0)
	s_barrier
	global_load_dwordx4 v[13:16], v58, s[12:13] offset:896
	global_load_dwordx4 v[17:20], v58, s[12:13] offset:912
	;; [unrolled: 1-line block ×3, first 2 shown]
	ds_read_b128 v[25:28], v12 offset:4096
	v_mov_b32_e32 v3, 0x200
	ds_read_b128 v[29:32], v12 offset:6144
	ds_read_b128 v[33:36], v12 offset:8192
	;; [unrolled: 1-line block ×3, first 2 shown]
	s_movk_i32 s1, 0x300
	v_lshl_or_b32 v3, v9, 2, v3
	s_movk_i32 s0, 0x100
	v_lshlrev_b32_e32 v1, 2, v0
	v_mul_u32_u24_e32 v4, 3, v9
	v_and_or_b32 v3, v3, s1, v57
	v_and_or_b32 v1, v1, s0, v57
	v_lshlrev_b32_e32 v59, 4, v4
	v_lshl_add_u32 v57, v3, 4, 0
	ds_read_b128 v[41:44], v12 offset:12288
	ds_read_b128 v[45:48], v12 offset:14336
	v_lshl_add_u32 v1, v1, 4, 0
	v_mov_b32_e32 v58, s13
	s_movk_i32 s4, 0x2000
	s_movk_i32 s5, 0x2780
	s_waitcnt vmcnt(2) lgkmcnt(5)
	v_mul_f64 v[3:4], v[27:28], v[15:16]
	v_mul_f64 v[10:11], v[25:26], v[15:16]
	s_waitcnt lgkmcnt(4)
	v_mul_f64 v[49:50], v[31:32], v[15:16]
	v_mul_f64 v[15:16], v[29:30], v[15:16]
	s_waitcnt vmcnt(1) lgkmcnt(3)
	v_mul_f64 v[51:52], v[35:36], v[19:20]
	v_mul_f64 v[53:54], v[33:34], v[19:20]
	s_waitcnt lgkmcnt(2)
	v_mul_f64 v[55:56], v[39:40], v[19:20]
	v_mul_f64 v[19:20], v[37:38], v[19:20]
	v_fma_f64 v[3:4], v[25:26], v[13:14], -v[3:4]
	v_fma_f64 v[10:11], v[27:28], v[13:14], v[10:11]
	s_waitcnt vmcnt(0) lgkmcnt(1)
	v_mul_f64 v[25:26], v[43:44], v[23:24]
	v_fma_f64 v[27:28], v[29:30], v[13:14], -v[49:50]
	v_fma_f64 v[29:30], v[31:32], v[13:14], v[15:16]
	v_mul_f64 v[31:32], v[41:42], v[23:24]
	s_waitcnt lgkmcnt(0)
	v_mul_f64 v[49:50], v[47:48], v[23:24]
	v_mul_f64 v[23:24], v[45:46], v[23:24]
	v_fma_f64 v[33:34], v[33:34], v[17:18], -v[51:52]
	v_fma_f64 v[35:36], v[35:36], v[17:18], v[53:54]
	v_fma_f64 v[25:26], v[41:42], v[21:22], -v[25:26]
	v_fma_f64 v[37:38], v[37:38], v[17:18], -v[55:56]
	v_fma_f64 v[39:40], v[39:40], v[17:18], v[19:20]
	v_fma_f64 v[31:32], v[43:44], v[21:22], v[31:32]
	v_fma_f64 v[41:42], v[45:46], v[21:22], -v[49:50]
	v_fma_f64 v[21:22], v[47:48], v[21:22], v[23:24]
	ds_read_b128 v[13:16], v12
	ds_read_b128 v[17:20], v12 offset:2048
	s_waitcnt lgkmcnt(0)
	v_add_f64 v[23:24], v[3:4], -v[25:26]
	s_barrier
	v_add_f64 v[33:34], v[13:14], -v[33:34]
	v_add_f64 v[35:36], v[15:16], -v[35:36]
	;; [unrolled: 1-line block ×7, first 2 shown]
	v_fma_f64 v[3:4], v[3:4], 2.0, -v[23:24]
	v_fma_f64 v[41:42], v[13:14], 2.0, -v[33:34]
	;; [unrolled: 1-line block ×8, first 2 shown]
	v_add_f64 v[13:14], v[33:34], -v[25:26]
	v_add_f64 v[15:16], v[35:36], v[23:24]
	v_add_f64 v[17:18], v[37:38], -v[21:22]
	v_add_f64 v[19:20], v[39:40], v[31:32]
	v_add_f64 v[21:22], v[41:42], -v[3:4]
	v_add_f64 v[23:24], v[43:44], -v[10:11]
	;; [unrolled: 1-line block ×4, first 2 shown]
	v_fma_f64 v[29:30], v[33:34], 2.0, -v[13:14]
	v_fma_f64 v[31:32], v[35:36], 2.0, -v[15:16]
	;; [unrolled: 1-line block ×8, first 2 shown]
	ds_write_b128 v1, v[13:16] offset:3072
	ds_write_b128 v57, v[17:20] offset:3072
	;; [unrolled: 1-line block ×6, first 2 shown]
	ds_write_b128 v1, v[37:40]
	ds_write_b128 v57, v[41:44]
	s_waitcnt lgkmcnt(0)
	s_barrier
	global_load_dwordx4 v[13:16], v59, s[12:13] offset:3968
	global_load_dwordx4 v[17:20], v59, s[12:13] offset:3984
	v_add_co_u32_e64 v1, s[0:1], s12, v59
	v_addc_co_u32_e64 v10, s[0:1], 0, v58, s[0:1]
	v_add_co_u32_e64 v3, s[0:1], s4, v1
	v_addc_co_u32_e64 v4, s[0:1], 0, v10, s[0:1]
	global_load_dwordx4 v[21:24], v59, s[12:13] offset:4000
	global_load_dwordx4 v[25:28], v[3:4], off offset:1920
	v_add_co_u32_e64 v3, s[0:1], s5, v1
	v_addc_co_u32_e64 v4, s[0:1], 0, v10, s[0:1]
	global_load_dwordx4 v[29:32], v[3:4], off offset:16
	global_load_dwordx4 v[33:36], v[3:4], off offset:32
	ds_read_b128 v[37:40], v12 offset:4096
	ds_read_b128 v[41:44], v12 offset:6144
	;; [unrolled: 1-line block ×4, first 2 shown]
	v_lshl_add_u32 v57, v0, 4, 0
	ds_read_b128 v[53:56], v12 offset:12288
	s_waitcnt vmcnt(5) lgkmcnt(4)
	v_mul_f64 v[3:4], v[39:40], v[15:16]
	v_mul_f64 v[10:11], v[37:38], v[15:16]
	s_waitcnt vmcnt(4) lgkmcnt(2)
	v_mul_f64 v[0:1], v[47:48], v[19:20]
	v_mul_f64 v[19:20], v[45:46], v[19:20]
	v_fma_f64 v[3:4], v[37:38], v[13:14], -v[3:4]
	v_fma_f64 v[10:11], v[39:40], v[13:14], v[10:11]
	ds_read_b128 v[13:16], v12 offset:14336
	s_waitcnt vmcnt(3) lgkmcnt(1)
	v_mul_f64 v[37:38], v[55:56], v[23:24]
	v_mul_f64 v[23:24], v[53:54], v[23:24]
	s_waitcnt vmcnt(2)
	v_mul_f64 v[39:40], v[43:44], v[27:28]
	v_fma_f64 v[0:1], v[45:46], v[17:18], -v[0:1]
	v_fma_f64 v[45:46], v[47:48], v[17:18], v[19:20]
	v_mul_f64 v[17:18], v[41:42], v[27:28]
	s_waitcnt vmcnt(1)
	v_mul_f64 v[27:28], v[51:52], v[31:32]
	v_mul_f64 v[31:32], v[49:50], v[31:32]
	s_waitcnt vmcnt(0) lgkmcnt(0)
	v_mul_f64 v[47:48], v[15:16], v[35:36]
	v_mul_f64 v[35:36], v[13:14], v[35:36]
	v_fma_f64 v[37:38], v[53:54], v[21:22], -v[37:38]
	v_fma_f64 v[53:54], v[55:56], v[21:22], v[23:24]
	v_fma_f64 v[39:40], v[41:42], v[25:26], -v[39:40]
	v_fma_f64 v[25:26], v[43:44], v[25:26], v[17:18]
	;; [unrolled: 2-line block ×4, first 2 shown]
	ds_read_b128 v[17:20], v12
	ds_read_b128 v[21:24], v12 offset:2048
	v_add_f64 v[33:34], v[3:4], -v[37:38]
	v_add_f64 v[35:36], v[10:11], -v[53:54]
	s_waitcnt lgkmcnt(0)
	v_add_f64 v[0:1], v[17:18], -v[0:1]
	v_add_f64 v[31:32], v[19:20], -v[45:46]
	;; [unrolled: 1-line block ×6, first 2 shown]
	v_fma_f64 v[3:4], v[3:4], 2.0, -v[33:34]
	v_fma_f64 v[10:11], v[10:11], 2.0, -v[35:36]
	;; [unrolled: 1-line block ×8, first 2 shown]
	v_add_f64 v[13:14], v[0:1], -v[35:36]
	v_add_f64 v[15:16], v[31:32], v[33:34]
	v_add_f64 v[17:18], v[37:38], -v[29:30]
	v_add_f64 v[19:20], v[41:42], v[27:28]
	v_add_f64 v[21:22], v[43:44], -v[3:4]
	v_add_f64 v[23:24], v[45:46], -v[10:11]
	;; [unrolled: 1-line block ×4, first 2 shown]
	v_fma_f64 v[29:30], v[0:1], 2.0, -v[13:14]
	v_fma_f64 v[31:32], v[31:32], 2.0, -v[15:16]
	;; [unrolled: 1-line block ×8, first 2 shown]
	s_barrier
	ds_write_b128 v12, v[13:16] offset:12288
	ds_write_b128 v12, v[29:32] offset:4096
	;; [unrolled: 1-line block ×5, first 2 shown]
	ds_write_b128 v12, v[37:40]
	ds_write_b128 v12, v[41:44] offset:2048
	ds_write_b128 v57, v[17:20] offset:14336
	s_waitcnt lgkmcnt(0)
	s_barrier
	s_and_saveexec_b64 s[0:1], vcc
	s_cbranch_execz .LBB0_21
; %bb.20:
	v_mul_lo_u32 v3, s3, v7
	v_mul_lo_u32 v4, s2, v8
	v_mad_u64_u32 v[0:1], s[0:1], s2, v7, 0
	v_lshl_add_u32 v7, v9, 4, 0
	v_mov_b32_e32 v10, v2
	v_add3_u32 v1, v1, v4, v3
	v_lshlrev_b64 v[0:1], 4, v[0:1]
	v_mov_b32_e32 v3, s11
	v_add_co_u32_e32 v4, vcc, s10, v0
	v_addc_co_u32_e32 v3, vcc, v3, v1, vcc
	v_lshlrev_b64 v[0:1], 4, v[5:6]
	ds_read_b128 v[11:14], v7
	v_add_co_u32_e32 v8, vcc, v4, v0
	v_addc_co_u32_e32 v15, vcc, v3, v1, vcc
	ds_read_b128 v[3:6], v7 offset:2048
	v_lshlrev_b64 v[0:1], 4, v[9:10]
	v_add_co_u32_e32 v0, vcc, v8, v0
	v_addc_co_u32_e32 v1, vcc, v15, v1, vcc
	s_waitcnt lgkmcnt(1)
	global_store_dwordx4 v[0:1], v[11:14], off
	v_add_u32_e32 v1, 0x80, v9
	v_lshlrev_b64 v[0:1], 4, v[1:2]
	ds_read_b128 v[10:13], v7 offset:6144
	v_add_co_u32_e32 v0, vcc, v8, v0
	v_addc_co_u32_e32 v1, vcc, v15, v1, vcc
	s_waitcnt lgkmcnt(1)
	global_store_dwordx4 v[0:1], v[3:6], off
	v_add_u32_e32 v1, 0x100, v9
	ds_read_b128 v[3:6], v7 offset:4096
	v_lshlrev_b64 v[0:1], 4, v[1:2]
	v_add_co_u32_e32 v0, vcc, v8, v0
	v_addc_co_u32_e32 v1, vcc, v15, v1, vcc
	s_waitcnt lgkmcnt(0)
	global_store_dwordx4 v[0:1], v[3:6], off
	v_add_u32_e32 v1, 0x180, v9
	v_lshlrev_b64 v[0:1], 4, v[1:2]
	ds_read_b128 v[3:6], v7 offset:8192
	v_add_co_u32_e32 v0, vcc, v8, v0
	v_addc_co_u32_e32 v1, vcc, v15, v1, vcc
	global_store_dwordx4 v[0:1], v[10:13], off
	ds_read_b128 v[10:13], v7 offset:10240
	v_add_u32_e32 v1, 0x200, v9
	v_lshlrev_b64 v[0:1], 4, v[1:2]
	v_add_co_u32_e32 v0, vcc, v8, v0
	v_addc_co_u32_e32 v1, vcc, v15, v1, vcc
	s_waitcnt lgkmcnt(1)
	global_store_dwordx4 v[0:1], v[3:6], off
	v_add_u32_e32 v1, 0x280, v9
	v_lshlrev_b64 v[0:1], 4, v[1:2]
	ds_read_b128 v[3:6], v7 offset:12288
	v_add_co_u32_e32 v0, vcc, v8, v0
	v_addc_co_u32_e32 v1, vcc, v15, v1, vcc
	s_waitcnt lgkmcnt(1)
	global_store_dwordx4 v[0:1], v[10:13], off
	ds_read_b128 v[10:13], v7 offset:14336
	v_add_u32_e32 v1, 0x300, v9
	v_lshlrev_b64 v[0:1], 4, v[1:2]
	v_add_co_u32_e32 v0, vcc, v8, v0
	v_addc_co_u32_e32 v1, vcc, v15, v1, vcc
	s_waitcnt lgkmcnt(1)
	global_store_dwordx4 v[0:1], v[3:6], off
	v_add_u32_e32 v1, 0x380, v9
	v_lshlrev_b64 v[0:1], 4, v[1:2]
	v_add_co_u32_e32 v0, vcc, v8, v0
	v_addc_co_u32_e32 v1, vcc, v15, v1, vcc
	s_waitcnt lgkmcnt(0)
	global_store_dwordx4 v[0:1], v[10:13], off
.LBB0_21:
	s_endpgm
	.section	.rodata,"a",@progbits
	.p2align	6, 0x0
	.amdhsa_kernel fft_rtc_fwd_len1024_factors_8_8_4_4_wgs_128_tpt_128_halfLds_dp_op_CI_CI_unitstride_sbrr_C2R_dirReg
		.amdhsa_group_segment_fixed_size 0
		.amdhsa_private_segment_fixed_size 0
		.amdhsa_kernarg_size 104
		.amdhsa_user_sgpr_count 6
		.amdhsa_user_sgpr_private_segment_buffer 1
		.amdhsa_user_sgpr_dispatch_ptr 0
		.amdhsa_user_sgpr_queue_ptr 0
		.amdhsa_user_sgpr_kernarg_segment_ptr 1
		.amdhsa_user_sgpr_dispatch_id 0
		.amdhsa_user_sgpr_flat_scratch_init 0
		.amdhsa_user_sgpr_private_segment_size 0
		.amdhsa_uses_dynamic_stack 0
		.amdhsa_system_sgpr_private_segment_wavefront_offset 0
		.amdhsa_system_sgpr_workgroup_id_x 1
		.amdhsa_system_sgpr_workgroup_id_y 0
		.amdhsa_system_sgpr_workgroup_id_z 0
		.amdhsa_system_sgpr_workgroup_info 0
		.amdhsa_system_vgpr_workitem_id 0
		.amdhsa_next_free_vgpr 60
		.amdhsa_next_free_sgpr 28
		.amdhsa_reserve_vcc 1
		.amdhsa_reserve_flat_scratch 0
		.amdhsa_float_round_mode_32 0
		.amdhsa_float_round_mode_16_64 0
		.amdhsa_float_denorm_mode_32 3
		.amdhsa_float_denorm_mode_16_64 3
		.amdhsa_dx10_clamp 1
		.amdhsa_ieee_mode 1
		.amdhsa_fp16_overflow 0
		.amdhsa_exception_fp_ieee_invalid_op 0
		.amdhsa_exception_fp_denorm_src 0
		.amdhsa_exception_fp_ieee_div_zero 0
		.amdhsa_exception_fp_ieee_overflow 0
		.amdhsa_exception_fp_ieee_underflow 0
		.amdhsa_exception_fp_ieee_inexact 0
		.amdhsa_exception_int_div_zero 0
	.end_amdhsa_kernel
	.text
.Lfunc_end0:
	.size	fft_rtc_fwd_len1024_factors_8_8_4_4_wgs_128_tpt_128_halfLds_dp_op_CI_CI_unitstride_sbrr_C2R_dirReg, .Lfunc_end0-fft_rtc_fwd_len1024_factors_8_8_4_4_wgs_128_tpt_128_halfLds_dp_op_CI_CI_unitstride_sbrr_C2R_dirReg
                                        ; -- End function
	.section	.AMDGPU.csdata,"",@progbits
; Kernel info:
; codeLenInByte = 5888
; NumSgprs: 32
; NumVgprs: 60
; ScratchSize: 0
; MemoryBound: 0
; FloatMode: 240
; IeeeMode: 1
; LDSByteSize: 0 bytes/workgroup (compile time only)
; SGPRBlocks: 3
; VGPRBlocks: 14
; NumSGPRsForWavesPerEU: 32
; NumVGPRsForWavesPerEU: 60
; Occupancy: 4
; WaveLimiterHint : 1
; COMPUTE_PGM_RSRC2:SCRATCH_EN: 0
; COMPUTE_PGM_RSRC2:USER_SGPR: 6
; COMPUTE_PGM_RSRC2:TRAP_HANDLER: 0
; COMPUTE_PGM_RSRC2:TGID_X_EN: 1
; COMPUTE_PGM_RSRC2:TGID_Y_EN: 0
; COMPUTE_PGM_RSRC2:TGID_Z_EN: 0
; COMPUTE_PGM_RSRC2:TIDIG_COMP_CNT: 0
	.type	__hip_cuid_c60ff072e5b9ce81,@object ; @__hip_cuid_c60ff072e5b9ce81
	.section	.bss,"aw",@nobits
	.globl	__hip_cuid_c60ff072e5b9ce81
__hip_cuid_c60ff072e5b9ce81:
	.byte	0                               ; 0x0
	.size	__hip_cuid_c60ff072e5b9ce81, 1

	.ident	"AMD clang version 19.0.0git (https://github.com/RadeonOpenCompute/llvm-project roc-6.4.0 25133 c7fe45cf4b819c5991fe208aaa96edf142730f1d)"
	.section	".note.GNU-stack","",@progbits
	.addrsig
	.addrsig_sym __hip_cuid_c60ff072e5b9ce81
	.amdgpu_metadata
---
amdhsa.kernels:
  - .args:
      - .actual_access:  read_only
        .address_space:  global
        .offset:         0
        .size:           8
        .value_kind:     global_buffer
      - .offset:         8
        .size:           8
        .value_kind:     by_value
      - .actual_access:  read_only
        .address_space:  global
        .offset:         16
        .size:           8
        .value_kind:     global_buffer
      - .actual_access:  read_only
        .address_space:  global
        .offset:         24
        .size:           8
        .value_kind:     global_buffer
      - .actual_access:  read_only
        .address_space:  global
        .offset:         32
        .size:           8
        .value_kind:     global_buffer
      - .offset:         40
        .size:           8
        .value_kind:     by_value
      - .actual_access:  read_only
        .address_space:  global
        .offset:         48
        .size:           8
        .value_kind:     global_buffer
      - .actual_access:  read_only
        .address_space:  global
        .offset:         56
        .size:           8
        .value_kind:     global_buffer
      - .offset:         64
        .size:           4
        .value_kind:     by_value
      - .actual_access:  read_only
        .address_space:  global
        .offset:         72
        .size:           8
        .value_kind:     global_buffer
      - .actual_access:  read_only
        .address_space:  global
        .offset:         80
        .size:           8
        .value_kind:     global_buffer
      - .actual_access:  read_only
        .address_space:  global
        .offset:         88
        .size:           8
        .value_kind:     global_buffer
      - .actual_access:  write_only
        .address_space:  global
        .offset:         96
        .size:           8
        .value_kind:     global_buffer
    .group_segment_fixed_size: 0
    .kernarg_segment_align: 8
    .kernarg_segment_size: 104
    .language:       OpenCL C
    .language_version:
      - 2
      - 0
    .max_flat_workgroup_size: 128
    .name:           fft_rtc_fwd_len1024_factors_8_8_4_4_wgs_128_tpt_128_halfLds_dp_op_CI_CI_unitstride_sbrr_C2R_dirReg
    .private_segment_fixed_size: 0
    .sgpr_count:     32
    .sgpr_spill_count: 0
    .symbol:         fft_rtc_fwd_len1024_factors_8_8_4_4_wgs_128_tpt_128_halfLds_dp_op_CI_CI_unitstride_sbrr_C2R_dirReg.kd
    .uniform_work_group_size: 1
    .uses_dynamic_stack: false
    .vgpr_count:     60
    .vgpr_spill_count: 0
    .wavefront_size: 64
amdhsa.target:   amdgcn-amd-amdhsa--gfx906
amdhsa.version:
  - 1
  - 2
...

	.end_amdgpu_metadata
